;; amdgpu-corpus repo=ROCm/rocFFT kind=compiled arch=gfx1030 opt=O3
	.text
	.amdgcn_target "amdgcn-amd-amdhsa--gfx1030"
	.amdhsa_code_object_version 6
	.protected	fft_rtc_back_len1620_factors_10_3_3_6_3_wgs_162_tpt_162_halfLds_half_op_CI_CI_sbrr_dirReg ; -- Begin function fft_rtc_back_len1620_factors_10_3_3_6_3_wgs_162_tpt_162_halfLds_half_op_CI_CI_sbrr_dirReg
	.globl	fft_rtc_back_len1620_factors_10_3_3_6_3_wgs_162_tpt_162_halfLds_half_op_CI_CI_sbrr_dirReg
	.p2align	8
	.type	fft_rtc_back_len1620_factors_10_3_3_6_3_wgs_162_tpt_162_halfLds_half_op_CI_CI_sbrr_dirReg,@function
fft_rtc_back_len1620_factors_10_3_3_6_3_wgs_162_tpt_162_halfLds_half_op_CI_CI_sbrr_dirReg: ; @fft_rtc_back_len1620_factors_10_3_3_6_3_wgs_162_tpt_162_halfLds_half_op_CI_CI_sbrr_dirReg
; %bb.0:
	s_clause 0x2
	s_load_dwordx4 s[16:19], s[4:5], 0x18
	s_load_dwordx4 s[8:11], s[4:5], 0x0
	;; [unrolled: 1-line block ×3, first 2 shown]
	v_mul_u32_u24_e32 v1, 0x195, v0
	v_mov_b32_e32 v7, 0
	v_mov_b32_e32 v5, 0
	;; [unrolled: 1-line block ×3, first 2 shown]
	s_waitcnt lgkmcnt(0)
	s_load_dwordx2 s[2:3], s[16:17], 0x0
	s_load_dwordx2 s[20:21], s[18:19], 0x0
	v_cmp_lt_u64_e64 s0, s[10:11], 2
	v_add_nc_u32_sdwa v9, s6, v1 dst_sel:DWORD dst_unused:UNUSED_PAD src0_sel:DWORD src1_sel:WORD_1
	v_mov_b32_e32 v10, v7
	s_and_b32 vcc_lo, exec_lo, s0
	s_cbranch_vccnz .LBB0_8
; %bb.1:
	s_load_dwordx2 s[0:1], s[4:5], 0x10
	v_mov_b32_e32 v5, 0
	v_mov_b32_e32 v6, 0
	s_add_u32 s6, s18, 8
	s_addc_u32 s7, s19, 0
	v_mov_b32_e32 v1, v5
	s_add_u32 s22, s16, 8
	v_mov_b32_e32 v2, v6
	s_addc_u32 s23, s17, 0
	s_mov_b64 s[26:27], 1
	s_waitcnt lgkmcnt(0)
	s_add_u32 s24, s0, 8
	s_addc_u32 s25, s1, 0
.LBB0_2:                                ; =>This Inner Loop Header: Depth=1
	s_load_dwordx2 s[28:29], s[24:25], 0x0
                                        ; implicit-def: $vgpr3_vgpr4
	s_mov_b32 s0, exec_lo
	s_waitcnt lgkmcnt(0)
	v_or_b32_e32 v8, s29, v10
	v_cmpx_ne_u64_e32 0, v[7:8]
	s_xor_b32 s1, exec_lo, s0
	s_cbranch_execz .LBB0_4
; %bb.3:                                ;   in Loop: Header=BB0_2 Depth=1
	v_cvt_f32_u32_e32 v3, s28
	v_cvt_f32_u32_e32 v4, s29
	s_sub_u32 s0, 0, s28
	s_subb_u32 s30, 0, s29
	v_fmac_f32_e32 v3, 0x4f800000, v4
	v_rcp_f32_e32 v3, v3
	v_mul_f32_e32 v3, 0x5f7ffffc, v3
	v_mul_f32_e32 v4, 0x2f800000, v3
	v_trunc_f32_e32 v4, v4
	v_fmac_f32_e32 v3, 0xcf800000, v4
	v_cvt_u32_f32_e32 v4, v4
	v_cvt_u32_f32_e32 v3, v3
	v_mul_lo_u32 v8, s0, v4
	v_mul_hi_u32 v11, s0, v3
	v_mul_lo_u32 v12, s30, v3
	v_add_nc_u32_e32 v8, v11, v8
	v_mul_lo_u32 v11, s0, v3
	v_add_nc_u32_e32 v8, v8, v12
	v_mul_hi_u32 v12, v3, v11
	v_mul_lo_u32 v13, v3, v8
	v_mul_hi_u32 v14, v3, v8
	v_mul_hi_u32 v15, v4, v11
	v_mul_lo_u32 v11, v4, v11
	v_mul_hi_u32 v16, v4, v8
	v_mul_lo_u32 v8, v4, v8
	v_add_co_u32 v12, vcc_lo, v12, v13
	v_add_co_ci_u32_e32 v13, vcc_lo, 0, v14, vcc_lo
	v_add_co_u32 v11, vcc_lo, v12, v11
	v_add_co_ci_u32_e32 v11, vcc_lo, v13, v15, vcc_lo
	v_add_co_ci_u32_e32 v12, vcc_lo, 0, v16, vcc_lo
	v_add_co_u32 v8, vcc_lo, v11, v8
	v_add_co_ci_u32_e32 v11, vcc_lo, 0, v12, vcc_lo
	v_add_co_u32 v3, vcc_lo, v3, v8
	v_add_co_ci_u32_e32 v4, vcc_lo, v4, v11, vcc_lo
	v_mul_hi_u32 v8, s0, v3
	v_mul_lo_u32 v12, s30, v3
	v_mul_lo_u32 v11, s0, v4
	v_add_nc_u32_e32 v8, v8, v11
	v_mul_lo_u32 v11, s0, v3
	v_add_nc_u32_e32 v8, v8, v12
	v_mul_hi_u32 v12, v3, v11
	v_mul_lo_u32 v13, v3, v8
	v_mul_hi_u32 v14, v3, v8
	v_mul_hi_u32 v15, v4, v11
	v_mul_lo_u32 v11, v4, v11
	v_mul_hi_u32 v16, v4, v8
	v_mul_lo_u32 v8, v4, v8
	v_add_co_u32 v12, vcc_lo, v12, v13
	v_add_co_ci_u32_e32 v13, vcc_lo, 0, v14, vcc_lo
	v_add_co_u32 v11, vcc_lo, v12, v11
	v_add_co_ci_u32_e32 v11, vcc_lo, v13, v15, vcc_lo
	v_add_co_ci_u32_e32 v12, vcc_lo, 0, v16, vcc_lo
	v_add_co_u32 v8, vcc_lo, v11, v8
	v_add_co_ci_u32_e32 v11, vcc_lo, 0, v12, vcc_lo
	v_add_co_u32 v8, vcc_lo, v3, v8
	v_add_co_ci_u32_e32 v13, vcc_lo, v4, v11, vcc_lo
	v_mul_hi_u32 v15, v9, v8
	v_mad_u64_u32 v[11:12], null, v10, v8, 0
	v_mad_u64_u32 v[3:4], null, v9, v13, 0
	v_mad_u64_u32 v[13:14], null, v10, v13, 0
	v_add_co_u32 v3, vcc_lo, v15, v3
	v_add_co_ci_u32_e32 v4, vcc_lo, 0, v4, vcc_lo
	v_add_co_u32 v3, vcc_lo, v3, v11
	v_add_co_ci_u32_e32 v3, vcc_lo, v4, v12, vcc_lo
	v_add_co_ci_u32_e32 v4, vcc_lo, 0, v14, vcc_lo
	v_add_co_u32 v8, vcc_lo, v3, v13
	v_add_co_ci_u32_e32 v11, vcc_lo, 0, v4, vcc_lo
	v_mul_lo_u32 v12, s29, v8
	v_mad_u64_u32 v[3:4], null, s28, v8, 0
	v_mul_lo_u32 v13, s28, v11
	v_sub_co_u32 v3, vcc_lo, v9, v3
	v_add3_u32 v4, v4, v13, v12
	v_sub_nc_u32_e32 v12, v10, v4
	v_subrev_co_ci_u32_e64 v12, s0, s29, v12, vcc_lo
	v_add_co_u32 v13, s0, v8, 2
	v_add_co_ci_u32_e64 v14, s0, 0, v11, s0
	v_sub_co_u32 v15, s0, v3, s28
	v_sub_co_ci_u32_e32 v4, vcc_lo, v10, v4, vcc_lo
	v_subrev_co_ci_u32_e64 v12, s0, 0, v12, s0
	v_cmp_le_u32_e32 vcc_lo, s28, v15
	v_cmp_eq_u32_e64 s0, s29, v4
	v_cndmask_b32_e64 v15, 0, -1, vcc_lo
	v_cmp_le_u32_e32 vcc_lo, s29, v12
	v_cndmask_b32_e64 v16, 0, -1, vcc_lo
	v_cmp_le_u32_e32 vcc_lo, s28, v3
	;; [unrolled: 2-line block ×3, first 2 shown]
	v_cndmask_b32_e64 v17, 0, -1, vcc_lo
	v_cmp_eq_u32_e32 vcc_lo, s29, v12
	v_cndmask_b32_e64 v3, v17, v3, s0
	v_cndmask_b32_e32 v12, v16, v15, vcc_lo
	v_add_co_u32 v15, vcc_lo, v8, 1
	v_add_co_ci_u32_e32 v16, vcc_lo, 0, v11, vcc_lo
	v_cmp_ne_u32_e32 vcc_lo, 0, v12
	v_cndmask_b32_e32 v4, v16, v14, vcc_lo
	v_cndmask_b32_e32 v12, v15, v13, vcc_lo
	v_cmp_ne_u32_e32 vcc_lo, 0, v3
	v_cndmask_b32_e32 v4, v11, v4, vcc_lo
	v_cndmask_b32_e32 v3, v8, v12, vcc_lo
.LBB0_4:                                ;   in Loop: Header=BB0_2 Depth=1
	s_andn2_saveexec_b32 s0, s1
	s_cbranch_execz .LBB0_6
; %bb.5:                                ;   in Loop: Header=BB0_2 Depth=1
	v_cvt_f32_u32_e32 v3, s28
	s_sub_i32 s1, 0, s28
	v_rcp_iflag_f32_e32 v3, v3
	v_mul_f32_e32 v3, 0x4f7ffffe, v3
	v_cvt_u32_f32_e32 v3, v3
	v_mul_lo_u32 v4, s1, v3
	v_mul_hi_u32 v4, v3, v4
	v_add_nc_u32_e32 v3, v3, v4
	v_mul_hi_u32 v3, v9, v3
	v_mul_lo_u32 v4, v3, s28
	v_add_nc_u32_e32 v8, 1, v3
	v_sub_nc_u32_e32 v4, v9, v4
	v_subrev_nc_u32_e32 v11, s28, v4
	v_cmp_le_u32_e32 vcc_lo, s28, v4
	v_cndmask_b32_e32 v4, v4, v11, vcc_lo
	v_cndmask_b32_e32 v3, v3, v8, vcc_lo
	v_cmp_le_u32_e32 vcc_lo, s28, v4
	v_add_nc_u32_e32 v8, 1, v3
	v_mov_b32_e32 v4, v7
	v_cndmask_b32_e32 v3, v3, v8, vcc_lo
.LBB0_6:                                ;   in Loop: Header=BB0_2 Depth=1
	s_or_b32 exec_lo, exec_lo, s0
	v_mul_lo_u32 v8, v4, s28
	v_mul_lo_u32 v13, v3, s29
	s_load_dwordx2 s[0:1], s[22:23], 0x0
	v_mad_u64_u32 v[11:12], null, v3, s28, 0
	s_load_dwordx2 s[28:29], s[6:7], 0x0
	s_add_u32 s26, s26, 1
	s_addc_u32 s27, s27, 0
	s_add_u32 s6, s6, 8
	s_addc_u32 s7, s7, 0
	s_add_u32 s22, s22, 8
	v_add3_u32 v8, v12, v13, v8
	v_sub_co_u32 v9, vcc_lo, v9, v11
	s_addc_u32 s23, s23, 0
	s_add_u32 s24, s24, 8
	v_sub_co_ci_u32_e32 v8, vcc_lo, v10, v8, vcc_lo
	s_addc_u32 s25, s25, 0
	s_waitcnt lgkmcnt(0)
	v_mul_lo_u32 v10, s0, v8
	v_mul_lo_u32 v11, s1, v9
	v_mad_u64_u32 v[5:6], null, s0, v9, v[5:6]
	v_mul_lo_u32 v8, s28, v8
	v_mul_lo_u32 v12, s29, v9
	v_mad_u64_u32 v[1:2], null, s28, v9, v[1:2]
	v_cmp_ge_u64_e64 s0, s[26:27], s[10:11]
	v_add3_u32 v6, v11, v6, v10
	v_add3_u32 v2, v12, v2, v8
	s_and_b32 vcc_lo, exec_lo, s0
	s_cbranch_vccnz .LBB0_9
; %bb.7:                                ;   in Loop: Header=BB0_2 Depth=1
	v_mov_b32_e32 v10, v4
	v_mov_b32_e32 v9, v3
	s_branch .LBB0_2
.LBB0_8:
	v_mov_b32_e32 v1, v5
	v_mov_b32_e32 v3, v9
	;; [unrolled: 1-line block ×4, first 2 shown]
.LBB0_9:
	s_load_dwordx2 s[0:1], s[4:5], 0x28
	v_mul_hi_u32 v30, 0x1948b10, v0
	s_lshl_b64 s[6:7], s[10:11], 3
                                        ; implicit-def: $vgpr7
                                        ; implicit-def: $vgpr9
                                        ; implicit-def: $vgpr10
                                        ; implicit-def: $vgpr8
	s_add_u32 s4, s18, s6
	s_addc_u32 s5, s19, s7
	s_waitcnt lgkmcnt(0)
	v_cmp_gt_u64_e32 vcc_lo, s[0:1], v[3:4]
	v_cmp_le_u64_e64 s0, s[0:1], v[3:4]
	s_and_saveexec_b32 s1, s0
	s_xor_b32 s0, exec_lo, s1
; %bb.10:
	v_mul_u32_u24_e32 v5, 0xa2, v30
                                        ; implicit-def: $vgpr30
	v_sub_nc_u32_e32 v7, v0, v5
                                        ; implicit-def: $vgpr0
                                        ; implicit-def: $vgpr5_vgpr6
	v_add_nc_u32_e32 v9, 0xa2, v7
	v_add_nc_u32_e32 v10, 0x144, v7
	;; [unrolled: 1-line block ×3, first 2 shown]
; %bb.11:
	s_or_saveexec_b32 s1, s0
                                        ; implicit-def: $vgpr15
                                        ; implicit-def: $vgpr13
                                        ; implicit-def: $vgpr23
                                        ; implicit-def: $vgpr29
                                        ; implicit-def: $vgpr16
                                        ; implicit-def: $vgpr18
                                        ; implicit-def: $vgpr24
                                        ; implicit-def: $vgpr25
                                        ; implicit-def: $vgpr17
                                        ; implicit-def: $vgpr20
                                        ; implicit-def: $vgpr26
                                        ; implicit-def: $vgpr27
                                        ; implicit-def: $vgpr19
                                        ; implicit-def: $vgpr21
                                        ; implicit-def: $vgpr28
                                        ; implicit-def: $vgpr33
                                        ; implicit-def: $vgpr22
                                        ; implicit-def: $vgpr12
                                        ; implicit-def: $vgpr14
                                        ; implicit-def: $vgpr11
	s_xor_b32 exec_lo, exec_lo, s1
	s_cbranch_execz .LBB0_13
; %bb.12:
	s_add_u32 s6, s16, s6
	s_addc_u32 s7, s17, s7
	v_mul_u32_u24_e32 v7, 0xa2, v30
	s_load_dwordx2 s[6:7], s[6:7], 0x0
	v_lshlrev_b64 v[5:6], 2, v[5:6]
	v_sub_nc_u32_e32 v7, v0, v7
	v_mad_u64_u32 v[11:12], null, s2, v7, 0
	v_add_nc_u32_e32 v9, 0xa2, v7
	v_add_nc_u32_e32 v10, 0x144, v7
	;; [unrolled: 1-line block ×5, first 2 shown]
	v_mad_u64_u32 v[13:14], null, s2, v9, 0
	v_mov_b32_e32 v0, v12
	v_mad_u64_u32 v[15:16], null, s2, v10, 0
	s_waitcnt lgkmcnt(0)
	v_mul_lo_u32 v12, s7, v3
	v_mul_lo_u32 v22, s6, v4
	v_mad_u64_u32 v[17:18], null, s6, v3, 0
	v_mad_u64_u32 v[19:20], null, s3, v7, v[0:1]
	v_mov_b32_e32 v0, v14
	v_mad_u64_u32 v[20:21], null, s2, v8, 0
	v_mov_b32_e32 v14, v16
	v_add3_u32 v18, v18, v22, v12
	v_mad_u64_u32 v[22:23], null, s3, v9, v[0:1]
	v_mad_u64_u32 v[23:24], null, s2, v25, 0
	v_lshlrev_b64 v[16:17], 2, v[17:18]
	v_mov_b32_e32 v12, v19
	v_mad_u64_u32 v[18:19], null, s3, v10, v[14:15]
	v_mov_b32_e32 v0, v21
	v_mov_b32_e32 v14, v22
	v_add_co_u32 v19, s0, s12, v16
	v_add_co_ci_u32_e64 v17, s0, s13, v17, s0
	v_mov_b32_e32 v16, v18
	v_add_co_u32 v34, s0, v19, v5
	v_add_co_ci_u32_e64 v35, s0, v17, v6, s0
	v_lshlrev_b64 v[5:6], 2, v[13:14]
	v_mad_u64_u32 v[13:14], null, s3, v8, v[0:1]
	v_mov_b32_e32 v0, v24
	v_add_nc_u32_e32 v22, 0x32a, v7
	v_lshlrev_b64 v[11:12], 2, v[11:12]
	v_lshlrev_b64 v[14:15], 2, v[15:16]
	v_add_nc_u32_e32 v30, 0x46e, v7
	v_mad_u64_u32 v[16:17], null, s3, v25, v[0:1]
	v_mad_u64_u32 v[17:18], null, s2, v22, 0
	v_add_co_u32 v11, s0, v34, v11
	v_add_co_ci_u32_e64 v12, s0, v35, v12, s0
	v_add_co_u32 v5, s0, v34, v5
	v_mov_b32_e32 v21, v13
	v_mov_b32_e32 v0, v18
	v_add_co_ci_u32_e64 v6, s0, v35, v6, s0
	v_add_co_u32 v13, s0, v34, v14
	v_add_co_ci_u32_e64 v14, s0, v35, v15, s0
	v_mov_b32_e32 v24, v16
	v_mad_u64_u32 v[15:16], null, s2, v27, 0
	v_lshlrev_b64 v[19:20], 2, v[20:21]
	v_mad_u64_u32 v[21:22], null, s3, v22, v[0:1]
	v_mad_u64_u32 v[25:26], null, s2, v30, 0
	v_lshlrev_b64 v[22:23], 2, v[23:24]
	v_mov_b32_e32 v0, v16
	v_add_nc_u32_e32 v24, 0x5b2, v7
	v_add_co_u32 v19, s0, v34, v19
	v_mov_b32_e32 v18, v21
	v_add_nc_u32_e32 v21, 0x510, v7
	v_mad_u64_u32 v[27:28], null, s3, v27, v[0:1]
	v_mov_b32_e32 v0, v26
	v_lshlrev_b64 v[17:18], 2, v[17:18]
	v_mad_u64_u32 v[28:29], null, s2, v21, 0
	v_add_co_ci_u32_e64 v20, s0, v35, v20, s0
	v_mad_u64_u32 v[30:31], null, s3, v30, v[0:1]
	v_mad_u64_u32 v[31:32], null, s2, v24, 0
	v_mov_b32_e32 v0, v29
	v_mov_b32_e32 v16, v27
	v_add_co_u32 v22, s0, v34, v22
	v_mov_b32_e32 v26, v30
	v_mad_u64_u32 v[29:30], null, s3, v21, v[0:1]
	v_mov_b32_e32 v0, v32
	v_lshlrev_b64 v[15:16], 2, v[15:16]
	v_add_co_ci_u32_e64 v23, s0, v35, v23, s0
	v_add_co_u32 v17, s0, v34, v17
	v_mad_u64_u32 v[32:33], null, s3, v24, v[0:1]
	v_lshlrev_b64 v[24:25], 2, v[25:26]
	v_add_co_ci_u32_e64 v18, s0, v35, v18, s0
	v_add_co_u32 v15, s0, v34, v15
	v_add_co_ci_u32_e64 v16, s0, v35, v16, s0
	v_lshlrev_b64 v[26:27], 2, v[28:29]
	v_add_co_u32 v28, s0, v34, v24
	v_add_co_ci_u32_e64 v29, s0, v35, v25, s0
	v_lshlrev_b64 v[24:25], 2, v[31:32]
	v_add_co_u32 v30, s0, v34, v26
	v_add_co_ci_u32_e64 v31, s0, v35, v27, s0
	v_add_co_u32 v34, s0, v34, v24
	v_add_co_ci_u32_e64 v35, s0, v35, v25, s0
	s_clause 0x9
	global_load_dword v11, v[11:12], off
	global_load_dword v12, v[5:6], off
	;; [unrolled: 1-line block ×10, first 2 shown]
	s_waitcnt vmcnt(9)
	v_lshrrev_b32_e32 v14, 16, v11
	s_waitcnt vmcnt(8)
	v_lshrrev_b32_e32 v22, 16, v12
	;; [unrolled: 2-line block ×10, first 2 shown]
.LBB0_13:
	s_or_b32 exec_lo, exec_lo, s1
	v_add_f16_e32 v0, v25, v27
	v_sub_f16_e32 v6, v28, v23
	v_add_f16_e32 v34, v29, v33
	v_add_f16_e32 v5, v33, v11
	v_sub_f16_e32 v30, v26, v24
	v_fma_f16 v0, -0.5, v0, v11
	v_sub_f16_e32 v31, v33, v27
	v_sub_f16_e32 v32, v29, v25
	v_fmac_f16_e32 v11, -0.5, v34
	v_sub_f16_e32 v35, v27, v33
	v_fmamk_f16 v36, v6, 0xbb9c, v0
	v_fmac_f16_e32 v0, 0x3b9c, v6
	v_add_f16_e32 v31, v32, v31
	v_add_f16_e32 v32, v18, v20
	v_fmamk_f16 v34, v30, 0x3b9c, v11
	v_fmac_f16_e32 v36, 0xb8b4, v30
	v_fmac_f16_e32 v0, 0x38b4, v30
	v_sub_f16_e32 v37, v25, v29
	v_fmac_f16_e32 v11, 0xbb9c, v30
	v_add_f16_e32 v30, v21, v12
	v_fma_f16 v39, -0.5, v32, v12
	v_fmac_f16_e32 v34, 0xb8b4, v6
	v_add_f16_e32 v32, v37, v35
	v_sub_f16_e32 v37, v21, v20
	v_sub_f16_e32 v38, v13, v18
	v_fmac_f16_e32 v11, 0x38b4, v6
	v_add_f16_e32 v6, v20, v30
	v_add_f16_e32 v30, v13, v21
	v_fmac_f16_e32 v36, 0x34f2, v31
	v_fmac_f16_e32 v0, 0x34f2, v31
	v_sub_f16_e32 v31, v19, v15
	v_add_f16_e32 v37, v38, v37
	v_fmac_f16_e32 v34, 0x34f2, v32
	v_fmac_f16_e32 v11, 0x34f2, v32
	v_fmac_f16_e32 v12, -0.5, v30
	v_add_f16_e32 v30, v16, v17
	v_sub_f16_e32 v32, v20, v21
	v_sub_f16_e32 v38, v18, v13
	v_fmamk_f16 v40, v31, 0xbb9c, v39
	v_sub_f16_e32 v35, v17, v16
	v_fmac_f16_e32 v39, 0x3b9c, v31
	v_fma_f16 v41, -0.5, v30, v22
	v_add_f16_e32 v30, v38, v32
	v_add_f16_e32 v32, v15, v19
	v_fmac_f16_e32 v40, 0xb8b4, v35
	v_add_f16_e32 v6, v18, v6
	v_sub_f16_e32 v21, v21, v13
	v_fmac_f16_e32 v39, 0x38b4, v35
	v_sub_f16_e32 v18, v20, v18
	v_fma_f16 v45, -0.5, v32, v22
	v_fmac_f16_e32 v40, 0x34f2, v37
	v_fmamk_f16 v42, v35, 0x3b9c, v12
	v_fmamk_f16 v43, v21, 0x3b9c, v41
	v_fmac_f16_e32 v39, 0x34f2, v37
	v_fmac_f16_e32 v12, 0xbb9c, v35
	v_sub_f16_e32 v20, v19, v17
	v_sub_f16_e32 v32, v15, v16
	v_fmamk_f16 v44, v18, 0xbb9c, v45
	v_sub_f16_e32 v35, v17, v19
	v_sub_f16_e32 v37, v16, v15
	v_fmac_f16_e32 v45, 0x3b9c, v18
	v_fmac_f16_e32 v41, 0xbb9c, v21
	;; [unrolled: 1-line block ×3, first 2 shown]
	v_add_f16_e32 v20, v32, v20
	v_fmac_f16_e32 v44, 0x38b4, v21
	v_add_f16_e32 v32, v37, v35
	v_fmac_f16_e32 v45, 0xb8b4, v21
	v_fmac_f16_e32 v41, 0xb8b4, v18
	v_add_f16_e32 v5, v27, v5
	v_fmac_f16_e32 v42, 0xb8b4, v31
	v_fmac_f16_e32 v12, 0x38b4, v31
	;; [unrolled: 1-line block ×6, first 2 shown]
	v_add_f16_e32 v5, v25, v5
	v_fmac_f16_e32 v42, 0x34f2, v30
	v_fmac_f16_e32 v12, 0x34f2, v30
	v_mul_f16_e32 v18, 0xb8b4, v43
	v_mul_f16_e32 v20, 0xbb9c, v44
	;; [unrolled: 1-line block ×4, first 2 shown]
	v_add_f16_e32 v5, v29, v5
	v_add_f16_e32 v6, v13, v6
	v_fmac_f16_e32 v18, 0x3a79, v40
	v_fmac_f16_e32 v20, 0x34f2, v42
	v_fmamk_f16 v13, v12, 0xb4f2, v21
	v_fmamk_f16 v21, v39, 0xba79, v30
	v_add_f16_e32 v30, v6, v5
	v_add_f16_e32 v31, v36, v18
	;; [unrolled: 1-line block ×4, first 2 shown]
	v_sub_f16_e32 v5, v5, v6
	v_mul_u32_u24_e32 v6, 10, v7
	v_add_f16_e32 v37, v0, v21
	v_sub_f16_e32 v18, v36, v18
	v_sub_f16_e32 v20, v34, v20
	;; [unrolled: 1-line block ×4, first 2 shown]
	v_lshl_add_u32 v46, v6, 1, 0
	v_pack_b32_f16 v0, v32, v35
	v_pack_b32_f16 v6, v30, v31
	;; [unrolled: 1-line block ×5, first 2 shown]
	s_load_dwordx2 s[4:5], s[4:5], 0x0
	ds_write2_b32 v46, v6, v0 offset1:1
	ds_write2_b32 v46, v5, v18 offset0:2 offset1:3
	ds_write_b32 v46, v11 offset:16
	v_mad_i32_i24 v0, 0xffffffee, v7, v46
	v_lshl_add_u32 v11, v10, 1, 0
	s_waitcnt lgkmcnt(0)
	s_barrier
	buffer_gl0_inv
	v_lshl_add_u32 v5, v9, 1, 0
	ds_read_u16 v20, v0
	ds_read_u16 v34, v0 offset:1080
	ds_read_u16 v32, v0 offset:1404
	;; [unrolled: 1-line block ×3, first 2 shown]
	ds_read_u16 v18, v11
	ds_read_u16 v21, v5
	ds_read_u16 v31, v0 offset:2808
	ds_read_u16 v38, v0 offset:2160
	;; [unrolled: 1-line block ×3, first 2 shown]
	v_cmp_gt_u32_e64 s0, 54, v7
	v_lshl_add_u32 v6, v8, 1, 0
                                        ; implicit-def: $vgpr36
                                        ; implicit-def: $vgpr37
	s_and_saveexec_b32 s1, s0
	s_cbranch_execz .LBB0_15
; %bb.14:
	ds_read_u16 v37, v0 offset:2052
	ds_read_u16 v13, v6
	ds_read_u16 v36, v0 offset:3132
.LBB0_15:
	s_or_b32 exec_lo, exec_lo, s1
	v_add_f16_e32 v47, v28, v14
	v_add_f16_e32 v48, v24, v26
	;; [unrolled: 1-line block ×3, first 2 shown]
	v_sub_f16_e32 v25, v27, v25
	v_sub_f16_e32 v29, v33, v29
	v_add_f16_e32 v47, v26, v47
	v_fma_f16 v48, -0.5, v48, v14
	v_fmac_f16_e32 v14, -0.5, v49
	v_sub_f16_e32 v33, v28, v26
	v_sub_f16_e32 v50, v23, v24
	v_add_f16_e32 v27, v24, v47
	v_sub_f16_e32 v26, v26, v28
	v_fmamk_f16 v49, v25, 0xbb9c, v14
	v_fmac_f16_e32 v14, 0x3b9c, v25
	v_add_f16_e32 v19, v19, v22
	v_add_f16_e32 v27, v23, v27
	v_sub_f16_e32 v23, v24, v23
	v_fmamk_f16 v47, v29, 0x3b9c, v48
	v_fmac_f16_e32 v49, 0x38b4, v29
	v_fmac_f16_e32 v14, 0xb8b4, v29
	v_add_f16_e32 v17, v17, v19
	v_add_f16_e32 v22, v23, v26
	v_fmac_f16_e32 v48, 0xbb9c, v29
	v_add_f16_e32 v33, v50, v33
	v_fmac_f16_e32 v47, 0x38b4, v25
	;; [unrolled: 2-line block ×3, first 2 shown]
	v_fmac_f16_e32 v14, 0x34f2, v22
	v_mul_f16_e32 v17, 0x38b4, v40
	v_mul_f16_e32 v19, 0x3b9c, v42
	;; [unrolled: 1-line block ×3, first 2 shown]
	v_fmac_f16_e32 v48, 0xb8b4, v25
	v_mul_f16_e32 v23, 0x3a79, v41
	v_fmac_f16_e32 v47, 0x34f2, v33
	v_add_f16_e32 v15, v15, v16
	v_fmac_f16_e32 v17, 0x3a79, v43
	v_fmac_f16_e32 v19, 0x34f2, v44
	v_fma_f16 v12, v12, 0x3b9c, -v22
	v_fmac_f16_e32 v48, 0x34f2, v33
	v_fma_f16 v16, v39, 0x38b4, -v23
	v_add_f16_e32 v22, v15, v27
	v_add_f16_e32 v23, v47, v17
	;; [unrolled: 1-line block ×5, first 2 shown]
	v_sub_f16_e32 v15, v27, v15
	v_sub_f16_e32 v27, v47, v17
	;; [unrolled: 1-line block ×5, first 2 shown]
	v_pack_b32_f16 v14, v24, v25
	v_pack_b32_f16 v16, v22, v23
	;; [unrolled: 1-line block ×5, first 2 shown]
	s_waitcnt lgkmcnt(0)
	s_barrier
	buffer_gl0_inv
	ds_write2_b32 v46, v16, v14 offset1:1
	ds_write2_b32 v46, v15, v19 offset0:2 offset1:3
	ds_write_b32 v46, v12 offset:16
	s_waitcnt lgkmcnt(0)
	s_barrier
	buffer_gl0_inv
	ds_read_u16 v16, v0
	ds_read_u16 v23, v0 offset:1080
	ds_read_u16 v15, v0 offset:1404
	;; [unrolled: 1-line block ×3, first 2 shown]
	ds_read_u16 v22, v11
	ds_read_u16 v24, v5
	ds_read_u16 v14, v0 offset:2808
	ds_read_u16 v28, v0 offset:2160
	;; [unrolled: 1-line block ×3, first 2 shown]
                                        ; implicit-def: $vgpr25
                                        ; implicit-def: $vgpr27
	s_and_saveexec_b32 s1, s0
	s_cbranch_execz .LBB0_17
; %bb.16:
	ds_read_u16 v27, v0 offset:2052
	ds_read_u16 v17, v6
	ds_read_u16 v25, v0 offset:3132
.LBB0_17:
	s_or_b32 exec_lo, exec_lo, s1
	v_and_b32_e32 v19, 0xff, v7
	v_mov_b32_e32 v29, 0xcccd
	v_mov_b32_e32 v42, 3
	v_mul_lo_u16 v33, 0xcd, v19
	v_mul_u32_u24_sdwa v39, v9, v29 dst_sel:DWORD dst_unused:UNUSED_PAD src0_sel:WORD_0 src1_sel:DWORD
	v_lshrrev_b16 v40, 11, v33
	v_mul_u32_u24_sdwa v33, v10, v29 dst_sel:DWORD dst_unused:UNUSED_PAD src0_sel:WORD_0 src1_sel:DWORD
	v_lshrrev_b32_e32 v39, 19, v39
	v_mul_u32_u24_sdwa v29, v8, v29 dst_sel:DWORD dst_unused:UNUSED_PAD src0_sel:WORD_0 src1_sel:DWORD
	v_mul_lo_u16 v41, v40, 10
	v_lshrrev_b32_e32 v43, 19, v33
	v_mul_lo_u16 v33, v39, 10
	v_lshrrev_b32_e32 v44, 19, v29
	v_sub_nc_u16 v41, v7, v41
	v_mul_lo_u16 v29, v43, 10
	v_sub_nc_u16 v45, v9, v33
	v_mul_lo_u16 v46, v44, 10
	v_mul_u32_u24_e32 v43, 60, v43
	v_lshlrev_b32_sdwa v33, v42, v41 dst_sel:DWORD dst_unused:UNUSED_PAD src0_sel:DWORD src1_sel:BYTE_0
	v_sub_nc_u16 v47, v10, v29
	v_lshlrev_b32_sdwa v29, v42, v45 dst_sel:DWORD dst_unused:UNUSED_PAD src0_sel:DWORD src1_sel:WORD_0
	s_clause 0x1
	global_load_dwordx2 v[51:52], v33, s[8:9]
	global_load_dwordx2 v[54:55], v29, s[8:9]
	v_sub_nc_u16 v33, v8, v46
	v_lshlrev_b32_sdwa v46, v42, v47 dst_sel:DWORD dst_unused:UNUSED_PAD src0_sel:DWORD src1_sel:WORD_0
	v_lshlrev_b32_sdwa v29, v42, v33 dst_sel:DWORD dst_unused:UNUSED_PAD src0_sel:DWORD src1_sel:WORD_0
	s_clause 0x1
	global_load_dwordx2 v[56:57], v46, s[8:9]
	global_load_dwordx2 v[58:59], v29, s[8:9]
	v_mov_b32_e32 v42, 60
	v_mov_b32_e32 v29, 1
	v_mul_u32_u24_e32 v46, 60, v39
	v_mul_lo_u16 v39, v44, 30
	s_waitcnt vmcnt(0) lgkmcnt(0)
	v_mul_u32_u24_sdwa v40, v40, v42 dst_sel:DWORD dst_unused:UNUSED_PAD src0_sel:WORD_0 src1_sel:DWORD
	v_lshlrev_b32_sdwa v41, v29, v41 dst_sel:DWORD dst_unused:UNUSED_PAD src0_sel:DWORD src1_sel:BYTE_0
	v_lshlrev_b32_sdwa v44, v29, v45 dst_sel:DWORD dst_unused:UNUSED_PAD src0_sel:DWORD src1_sel:WORD_0
	v_lshlrev_b32_sdwa v45, v29, v47 dst_sel:DWORD dst_unused:UNUSED_PAD src0_sel:DWORD src1_sel:WORD_0
	s_barrier
	buffer_gl0_inv
	v_add3_u32 v42, 0, v40, v41
	v_add3_u32 v41, 0, v46, v44
	;; [unrolled: 1-line block ×3, first 2 shown]
	v_mul_f16_sdwa v49, v23, v51 dst_sel:DWORD dst_unused:UNUSED_PAD src0_sel:DWORD src1_sel:WORD_1
	v_mul_f16_sdwa v50, v28, v52 dst_sel:DWORD dst_unused:UNUSED_PAD src0_sel:DWORD src1_sel:WORD_1
	;; [unrolled: 1-line block ×7, first 2 shown]
	v_fmac_f16_e32 v49, v34, v51
	v_fmac_f16_e32 v50, v38, v52
	v_mul_f16_sdwa v62, v30, v55 dst_sel:DWORD dst_unused:UNUSED_PAD src0_sel:DWORD src1_sel:WORD_1
	v_fmac_f16_e32 v47, v32, v54
	v_mul_f16_sdwa v43, v26, v56 dst_sel:DWORD dst_unused:UNUSED_PAD src0_sel:DWORD src1_sel:WORD_1
	v_mul_f16_sdwa v44, v27, v58 dst_sel:DWORD dst_unused:UNUSED_PAD src0_sel:DWORD src1_sel:WORD_1
	;; [unrolled: 1-line block ×6, first 2 shown]
	v_fmac_f16_e32 v44, v37, v58
	v_fmac_f16_e32 v46, v36, v59
	v_mul_f16_sdwa v64, v31, v57 dst_sel:DWORD dst_unused:UNUSED_PAD src0_sel:DWORD src1_sel:WORD_1
	v_mul_f16_sdwa v63, v35, v56 dst_sel:DWORD dst_unused:UNUSED_PAD src0_sel:DWORD src1_sel:WORD_1
	v_fmac_f16_e32 v48, v30, v55
	v_fmac_f16_e32 v43, v35, v56
	;; [unrolled: 1-line block ×3, first 2 shown]
	v_fma_f16 v34, v27, v58, -v65
	v_fma_f16 v31, v25, v59, -v66
	v_add_f16_e32 v37, v44, v46
	v_fma_f16 v53, v23, v51, -v53
	v_fma_f16 v38, v28, v52, -v60
	;; [unrolled: 1-line block ×4, first 2 shown]
	v_add_f16_e32 v14, v49, v50
	v_fma_f16 v51, v12, v55, -v62
	v_fma_f16 v32, v26, v56, -v63
	v_add_f16_e32 v26, v47, v48
	v_add_f16_e32 v12, v20, v49
	;; [unrolled: 1-line block ×4, first 2 shown]
	v_sub_f16_e32 v54, v34, v31
	v_fmac_f16_e32 v13, -0.5, v37
	v_sub_f16_e32 v23, v53, v38
	v_add_f16_e32 v25, v21, v47
	v_add_f16_e32 v28, v18, v43
	v_fmac_f16_e32 v20, -0.5, v14
	v_sub_f16_e32 v27, v52, v51
	v_fmac_f16_e32 v21, -0.5, v26
	v_sub_f16_e32 v35, v32, v15
	v_add_f16_e32 v55, v12, v50
	v_fmac_f16_e32 v18, -0.5, v30
	v_add_f16_e32 v12, v36, v46
	v_fmamk_f16 v26, v54, 0xbaee, v13
	v_fmac_f16_e32 v13, 0x3aee, v54
	v_add_f16_e32 v14, v25, v48
	v_add_f16_e32 v25, v28, v45
	v_fmamk_f16 v28, v23, 0xbaee, v20
	v_fmac_f16_e32 v20, 0x3aee, v23
	v_fmamk_f16 v23, v27, 0xbaee, v21
	v_fmac_f16_e32 v21, 0x3aee, v27
	;; [unrolled: 2-line block ×3, first 2 shown]
	ds_write_b16 v42, v55
	ds_write_b16 v42, v28 offset:20
	ds_write_b16 v42, v20 offset:40
	ds_write_b16 v41, v14
	ds_write_b16 v41, v23 offset:20
	ds_write_b16 v41, v21 offset:40
	ds_write_b16 v40, v25
	ds_write_b16 v40, v27 offset:20
	ds_write_b16 v40, v18 offset:40
	s_and_saveexec_b32 s1, s0
	s_cbranch_execz .LBB0_19
; %bb.18:
	v_lshlrev_b32_sdwa v14, v29, v33 dst_sel:DWORD dst_unused:UNUSED_PAD src0_sel:DWORD src1_sel:WORD_0
	v_lshlrev_b32_sdwa v18, v29, v39 dst_sel:DWORD dst_unused:UNUSED_PAD src0_sel:DWORD src1_sel:WORD_0
	v_add3_u32 v14, 0, v14, v18
	ds_write_b16 v14, v12
	ds_write_b16 v14, v26 offset:20
	ds_write_b16 v14, v13 offset:40
.LBB0_19:
	s_or_b32 exec_lo, exec_lo, s1
	s_waitcnt lgkmcnt(0)
	s_barrier
	buffer_gl0_inv
	ds_read_u16 v23, v0
	ds_read_u16 v29, v0 offset:1080
	ds_read_u16 v27, v0 offset:1404
	;; [unrolled: 1-line block ×3, first 2 shown]
	ds_read_u16 v14, v11
	ds_read_u16 v25, v5
	ds_read_u16 v20, v0 offset:2808
	ds_read_u16 v30, v0 offset:2160
	;; [unrolled: 1-line block ×3, first 2 shown]
	s_and_saveexec_b32 s1, s0
	s_cbranch_execz .LBB0_21
; %bb.20:
	ds_read_u16 v26, v0 offset:2052
	ds_read_u16 v12, v6
	ds_read_u16 v13, v0 offset:3132
.LBB0_21:
	s_or_b32 exec_lo, exec_lo, s1
	v_add_f16_e32 v21, v53, v38
	v_add_f16_e32 v37, v52, v51
	;; [unrolled: 1-line block ×3, first 2 shown]
	v_sub_f16_e32 v36, v49, v50
	v_sub_f16_e32 v47, v47, v48
	v_fmac_f16_e32 v16, -0.5, v21
	v_add_f16_e32 v21, v24, v52
	v_fmac_f16_e32 v24, -0.5, v37
	v_add_f16_e32 v35, v35, v38
	s_waitcnt lgkmcnt(0)
	v_fmamk_f16 v37, v36, 0x3aee, v16
	v_fmac_f16_e32 v16, 0xbaee, v36
	v_add_f16_e32 v36, v32, v15
	v_fmamk_f16 v38, v47, 0x3aee, v24
	v_fmac_f16_e32 v24, 0xbaee, v47
	v_add_f16_e32 v47, v34, v31
	v_add_f16_e32 v32, v22, v32
	v_fmac_f16_e32 v22, -0.5, v36
	v_sub_f16_e32 v36, v43, v45
	v_add_f16_e32 v34, v17, v34
	v_fmac_f16_e32 v17, -0.5, v47
	v_sub_f16_e32 v43, v44, v46
	v_add_f16_e32 v44, v32, v15
	v_add_f16_e32 v21, v21, v51
	;; [unrolled: 1-line block ×3, first 2 shown]
	v_fmamk_f16 v45, v36, 0x3aee, v22
	v_fmamk_f16 v32, v43, 0x3aee, v17
	v_fmac_f16_e32 v17, 0xbaee, v43
	v_fmac_f16_e32 v22, 0xbaee, v36
	s_barrier
	buffer_gl0_inv
	ds_write_b16 v42, v35
	ds_write_b16 v42, v37 offset:20
	ds_write_b16 v42, v16 offset:40
	ds_write_b16 v41, v21
	ds_write_b16 v41, v38 offset:20
	ds_write_b16 v41, v24 offset:40
	;; [unrolled: 3-line block ×3, first 2 shown]
	s_and_saveexec_b32 s1, s0
	s_cbranch_execz .LBB0_23
; %bb.22:
	v_mov_b32_e32 v16, 1
	v_lshlrev_b32_sdwa v21, v16, v33 dst_sel:DWORD dst_unused:UNUSED_PAD src0_sel:DWORD src1_sel:WORD_0
	v_lshlrev_b32_sdwa v16, v16, v39 dst_sel:DWORD dst_unused:UNUSED_PAD src0_sel:DWORD src1_sel:WORD_0
	v_add3_u32 v16, 0, v21, v16
	ds_write_b16 v16, v15
	ds_write_b16 v16, v32 offset:20
	ds_write_b16 v16, v17 offset:40
.LBB0_23:
	s_or_b32 exec_lo, exec_lo, s1
	s_waitcnt lgkmcnt(0)
	s_barrier
	buffer_gl0_inv
	ds_read_u16 v21, v0
	ds_read_u16 v39, v0 offset:1080
	ds_read_u16 v34, v0 offset:1404
	;; [unrolled: 1-line block ×3, first 2 shown]
	ds_read_u16 v16, v11
	ds_read_u16 v22, v5
	ds_read_u16 v33, v0 offset:2808
	ds_read_u16 v41, v0 offset:2160
	;; [unrolled: 1-line block ×3, first 2 shown]
	s_and_saveexec_b32 s1, s0
	s_cbranch_execz .LBB0_25
; %bb.24:
	ds_read_u16 v32, v0 offset:2052
	ds_read_u16 v15, v6
	ds_read_u16 v17, v0 offset:3132
.LBB0_25:
	s_or_b32 exec_lo, exec_lo, s1
	v_mul_lo_u16 v19, 0x89, v19
	v_mov_b32_e32 v31, 0x8889
	v_mov_b32_e32 v38, 3
	;; [unrolled: 1-line block ×3, first 2 shown]
	v_lshrrev_b16 v19, 12, v19
	v_mul_u32_u24_sdwa v35, v9, v31 dst_sel:DWORD dst_unused:UNUSED_PAD src0_sel:WORD_0 src1_sel:DWORD
	v_mul_u32_u24_sdwa v40, v10, v31 dst_sel:DWORD dst_unused:UNUSED_PAD src0_sel:WORD_0 src1_sel:DWORD
	;; [unrolled: 1-line block ×3, first 2 shown]
	v_mul_lo_u16 v37, v19, 30
	v_lshrrev_b32_e32 v35, 20, v35
	v_lshrrev_b32_e32 v40, 20, v40
	;; [unrolled: 1-line block ×3, first 2 shown]
	v_sub_nc_u16 v37, v7, v37
	v_mul_lo_u16 v42, v35, 30
	v_mul_lo_u16 v31, v40, 30
	v_mul_lo_u16 v46, v44, 30
	v_mul_u32_u24_e32 v40, 0xb4, v40
	v_lshlrev_b32_sdwa v43, v38, v37 dst_sel:DWORD dst_unused:UNUSED_PAD src0_sel:DWORD src1_sel:BYTE_0
	v_sub_nc_u16 v45, v9, v42
	v_sub_nc_u16 v47, v10, v31
	;; [unrolled: 1-line block ×3, first 2 shown]
	v_lshlrev_b32_sdwa v37, v51, v37 dst_sel:DWORD dst_unused:UNUSED_PAD src0_sel:DWORD src1_sel:BYTE_0
	global_load_dwordx2 v[42:43], v43, s[8:9] offset:80
	v_lshlrev_b32_sdwa v48, v38, v45 dst_sel:DWORD dst_unused:UNUSED_PAD src0_sel:DWORD src1_sel:WORD_0
	v_lshlrev_b32_sdwa v46, v38, v47 dst_sel:DWORD dst_unused:UNUSED_PAD src0_sel:DWORD src1_sel:WORD_0
	;; [unrolled: 1-line block ×3, first 2 shown]
	s_clause 0x2
	global_load_dwordx2 v[52:53], v48, s[8:9] offset:80
	global_load_dwordx2 v[54:55], v46, s[8:9] offset:80
	;; [unrolled: 1-line block ×3, first 2 shown]
	v_mov_b32_e32 v38, 0xb4
	v_lshlrev_b32_sdwa v46, v51, v47 dst_sel:DWORD dst_unused:UNUSED_PAD src0_sel:DWORD src1_sel:WORD_0
	s_waitcnt vmcnt(0) lgkmcnt(0)
	s_barrier
	buffer_gl0_inv
	v_mul_u32_u24_sdwa v19, v19, v38 dst_sel:DWORD dst_unused:UNUSED_PAD src0_sel:WORD_0 src1_sel:DWORD
	v_mul_u32_u24_e32 v38, 0xb4, v35
	v_mul_lo_u16 v35, 0x5a, v44
	v_lshlrev_b32_sdwa v44, v51, v45 dst_sel:DWORD dst_unused:UNUSED_PAD src0_sel:DWORD src1_sel:WORD_0
	v_add3_u32 v40, 0, v40, v46
	v_add3_u32 v37, 0, v19, v37
	;; [unrolled: 1-line block ×3, first 2 shown]
	v_mul_f16_sdwa v45, v39, v42 dst_sel:DWORD dst_unused:UNUSED_PAD src0_sel:DWORD src1_sel:WORD_1
	v_mul_f16_sdwa v19, v29, v42 dst_sel:DWORD dst_unused:UNUSED_PAD src0_sel:DWORD src1_sel:WORD_1
	;; [unrolled: 1-line block ×4, first 2 shown]
	v_fmac_f16_e32 v45, v29, v42
	v_fma_f16 v49, v39, v42, -v19
	v_fmac_f16_e32 v47, v30, v43
	v_fma_f16 v43, v41, v43, -v44
	v_mul_f16_sdwa v44, v34, v52 dst_sel:DWORD dst_unused:UNUSED_PAD src0_sel:DWORD src1_sel:WORD_1
	v_mul_f16_sdwa v46, v24, v53 dst_sel:DWORD dst_unused:UNUSED_PAD src0_sel:DWORD src1_sel:WORD_1
	;; [unrolled: 1-line block ×12, first 2 shown]
	v_fmac_f16_e32 v44, v27, v52
	v_fmac_f16_e32 v46, v18, v53
	;; [unrolled: 1-line block ×5, first 2 shown]
	v_add_f16_e32 v18, v23, v45
	v_fmac_f16_e32 v42, v13, v57
	v_fma_f16 v50, v34, v52, -v19
	v_fma_f16 v48, v24, v53, -v30
	;; [unrolled: 1-line block ×5, first 2 shown]
	v_add_f16_e32 v19, v45, v47
	v_fma_f16 v28, v17, v57, -v61
	v_add_f16_e32 v20, v18, v47
	v_add_f16_e32 v18, v44, v46
	;; [unrolled: 1-line block ×4, first 2 shown]
	v_sub_f16_e32 v13, v49, v43
	v_fmac_f16_e32 v23, -0.5, v19
	v_add_f16_e32 v17, v25, v44
	v_sub_f16_e32 v19, v50, v48
	v_add_f16_e32 v24, v14, v29
	v_sub_f16_e32 v30, v34, v27
	;; [unrolled: 2-line block ×3, first 2 shown]
	v_fmac_f16_e32 v25, -0.5, v18
	v_fmac_f16_e32 v14, -0.5, v26
	;; [unrolled: 1-line block ×3, first 2 shown]
	v_fmamk_f16 v53, v13, 0xbaee, v23
	v_fmac_f16_e32 v23, 0x3aee, v13
	v_add_f16_e32 v13, v17, v46
	v_add_f16_e32 v17, v24, v41
	;; [unrolled: 1-line block ×3, first 2 shown]
	ds_write_b16 v37, v20
	v_fmamk_f16 v24, v19, 0xbaee, v25
	v_fmac_f16_e32 v25, 0x3aee, v19
	v_fmamk_f16 v20, v30, 0xbaee, v14
	v_fmac_f16_e32 v14, 0x3aee, v30
	;; [unrolled: 2-line block ×3, first 2 shown]
	ds_write_b16 v37, v53 offset:60
	ds_write_b16 v37, v23 offset:120
	ds_write_b16 v38, v13
	ds_write_b16 v38, v24 offset:60
	ds_write_b16 v38, v25 offset:120
	ds_write_b16 v40, v17
	ds_write_b16 v40, v20 offset:60
	ds_write_b16 v40, v14 offset:120
	s_and_saveexec_b32 s1, s0
	s_cbranch_execz .LBB0_27
; %bb.26:
	v_lshlrev_b32_sdwa v13, v51, v31 dst_sel:DWORD dst_unused:UNUSED_PAD src0_sel:DWORD src1_sel:WORD_0
	v_lshlrev_b32_sdwa v23, v51, v35 dst_sel:DWORD dst_unused:UNUSED_PAD src0_sel:DWORD src1_sel:WORD_0
	v_add3_u32 v13, 0, v13, v23
	ds_write_b16 v13, v18
	ds_write_b16 v13, v19 offset:60
	ds_write_b16 v13, v12 offset:120
.LBB0_27:
	s_or_b32 exec_lo, exec_lo, s1
	s_waitcnt lgkmcnt(0)
	s_barrier
	buffer_gl0_inv
	ds_read_u16 v13, v0
	ds_read_u16 v30, v0 offset:540
	ds_read_u16 v26, v0 offset:1080
	;; [unrolled: 1-line block ×5, first 2 shown]
	v_cmp_gt_u32_e64 s1, 0x6c, v7
	s_and_saveexec_b32 s2, s1
	s_cbranch_execz .LBB0_29
; %bb.28:
	ds_read_u16 v20, v0 offset:864
	ds_read_u16 v14, v0 offset:1404
	;; [unrolled: 1-line block ×4, first 2 shown]
	ds_read_u16 v17, v5
	ds_read_u16 v12, v0 offset:3024
.LBB0_29:
	s_or_b32 exec_lo, exec_lo, s2
	v_add_f16_e32 v33, v49, v43
	v_sub_f16_e32 v45, v45, v47
	v_add_f16_e32 v47, v50, v48
	v_add_f16_e32 v36, v21, v49
	v_sub_f16_e32 v44, v44, v46
	v_fmac_f16_e32 v21, -0.5, v33
	v_add_f16_e32 v33, v22, v50
	v_fmac_f16_e32 v22, -0.5, v47
	v_add_f16_e32 v36, v36, v43
	v_sub_f16_e32 v29, v29, v41
	v_fmamk_f16 v43, v45, 0x3aee, v21
	v_fmac_f16_e32 v21, 0xbaee, v45
	v_add_f16_e32 v45, v33, v48
	v_add_f16_e32 v33, v34, v27
	v_fmamk_f16 v46, v44, 0x3aee, v22
	v_fmac_f16_e32 v22, 0xbaee, v44
	v_add_f16_e32 v44, v32, v28
	v_add_f16_e32 v34, v16, v34
	v_fmac_f16_e32 v16, -0.5, v33
	v_add_f16_e32 v32, v15, v32
	v_sub_f16_e32 v39, v39, v42
	v_fmac_f16_e32 v15, -0.5, v44
	v_add_f16_e32 v27, v34, v27
	v_fmamk_f16 v34, v29, 0x3aee, v16
	v_fmac_f16_e32 v16, 0xbaee, v29
	v_add_f16_e32 v33, v32, v28
	v_fmamk_f16 v32, v39, 0x3aee, v15
	v_fmac_f16_e32 v15, 0xbaee, v39
	s_waitcnt lgkmcnt(0)
	s_barrier
	buffer_gl0_inv
	ds_write_b16 v37, v36
	ds_write_b16 v37, v43 offset:60
	ds_write_b16 v37, v21 offset:120
	ds_write_b16 v38, v45
	ds_write_b16 v38, v46 offset:60
	ds_write_b16 v38, v22 offset:120
	;; [unrolled: 3-line block ×3, first 2 shown]
	s_and_saveexec_b32 s2, s0
	s_cbranch_execz .LBB0_31
; %bb.30:
	v_mov_b32_e32 v21, 1
	v_lshlrev_b32_sdwa v22, v21, v31 dst_sel:DWORD dst_unused:UNUSED_PAD src0_sel:DWORD src1_sel:WORD_0
	v_lshlrev_b32_sdwa v21, v21, v35 dst_sel:DWORD dst_unused:UNUSED_PAD src0_sel:DWORD src1_sel:WORD_0
	v_add3_u32 v21, 0, v22, v21
	ds_write_b16 v21, v33
	ds_write_b16 v21, v32 offset:60
	ds_write_b16 v21, v15 offset:120
.LBB0_31:
	s_or_b32 exec_lo, exec_lo, s2
	s_waitcnt lgkmcnt(0)
	s_barrier
	buffer_gl0_inv
	ds_read_u16 v28, v0
	ds_read_u16 v37, v0 offset:540
	ds_read_u16 v36, v0 offset:1080
	ds_read_u16 v35, v0 offset:1620
	ds_read_u16 v22, v0 offset:2160
	ds_read_u16 v21, v0 offset:2700
	s_and_saveexec_b32 s2, s1
	s_cbranch_execz .LBB0_33
; %bb.32:
	ds_read_u16 v34, v0 offset:864
	ds_read_u16 v16, v0 offset:1404
	;; [unrolled: 1-line block ×4, first 2 shown]
	ds_read_u16 v27, v5
	ds_read_u16 v15, v0 offset:3024
.LBB0_33:
	s_or_b32 exec_lo, exec_lo, s2
	v_add_nc_u32_e32 v29, 0xffffffa6, v7
	v_cmp_gt_u32_e64 s2, 0x5a, v7
	v_mov_b32_e32 v39, 0
	v_mov_b32_e32 v40, 5
	v_cndmask_b32_e64 v31, v29, v7, s2
	v_mov_b32_e32 v29, 0x2d83
	v_mul_i32_i24_e32 v38, 5, v31
	v_mul_u32_u24_sdwa v29, v9, v29 dst_sel:DWORD dst_unused:UNUSED_PAD src0_sel:WORD_0 src1_sel:DWORD
	v_lshlrev_b32_e32 v31, 1, v31
	v_lshlrev_b64 v[38:39], 2, v[38:39]
	v_lshrrev_b32_e32 v52, 20, v29
	v_mul_lo_u16 v29, 0x5a, v52
	v_add_co_u32 v38, s2, s8, v38
	v_add_co_ci_u32_e64 v39, s2, s9, v39, s2
	v_sub_nc_u16 v29, v9, v29
	v_cmp_lt_u32_e64 s2, 0x59, v7
	s_clause 0x1
	global_load_dwordx4 v[44:47], v[38:39], off offset:320
	global_load_dword v53, v[38:39], off offset:336
	v_mul_u32_u24_sdwa v38, v29, v40 dst_sel:DWORD dst_unused:UNUSED_PAD src0_sel:WORD_0 src1_sel:DWORD
	v_lshlrev_b32_e32 v38, 2, v38
	s_clause 0x1
	global_load_dwordx4 v[48:51], v38, s[8:9] offset:320
	global_load_dword v54, v38, s[8:9] offset:336
	v_cndmask_b32_e64 v38, 0, 0x438, s2
	s_waitcnt vmcnt(0) lgkmcnt(0)
	s_barrier
	buffer_gl0_inv
	v_add3_u32 v31, 0, v38, v31
	v_mul_f16_sdwa v40, v30, v44 dst_sel:DWORD dst_unused:UNUSED_PAD src0_sel:DWORD src1_sel:WORD_1
	v_mul_f16_sdwa v39, v36, v45 dst_sel:DWORD dst_unused:UNUSED_PAD src0_sel:DWORD src1_sel:WORD_1
	;; [unrolled: 1-line block ×10, first 2 shown]
	v_fma_f16 v42, v37, v44, -v40
	v_fmac_f16_e32 v39, v26, v45
	v_fma_f16 v45, v36, v45, -v43
	v_fmac_f16_e32 v55, v25, v46
	;; [unrolled: 2-line block ×3, first 2 shown]
	v_fma_f16 v37, v22, v47, -v57
	v_mul_f16_sdwa v22, v14, v49 dst_sel:DWORD dst_unused:UNUSED_PAD src0_sel:DWORD src1_sel:WORD_1
	v_mul_f16_sdwa v24, v18, v50 dst_sel:DWORD dst_unused:UNUSED_PAD src0_sel:DWORD src1_sel:WORD_1
	;; [unrolled: 1-line block ×3, first 2 shown]
	v_fmac_f16_e32 v38, v30, v44
	v_fmac_f16_e32 v58, v23, v53
	v_fma_f16 v40, v21, v53, -v59
	v_mul_f16_sdwa v30, v34, v48 dst_sel:DWORD dst_unused:UNUSED_PAD src0_sel:DWORD src1_sel:WORD_1
	v_mul_f16_sdwa v21, v20, v48 dst_sel:DWORD dst_unused:UNUSED_PAD src0_sel:DWORD src1_sel:WORD_1
	v_mul_f16_sdwa v35, v16, v49 dst_sel:DWORD dst_unused:UNUSED_PAD src0_sel:DWORD src1_sel:WORD_1
	v_mul_f16_sdwa v23, v33, v50 dst_sel:DWORD dst_unused:UNUSED_PAD src0_sel:DWORD src1_sel:WORD_1
	v_mul_f16_sdwa v36, v32, v51 dst_sel:DWORD dst_unused:UNUSED_PAD src0_sel:DWORD src1_sel:WORD_1
	v_mul_f16_sdwa v25, v19, v51 dst_sel:DWORD dst_unused:UNUSED_PAD src0_sel:DWORD src1_sel:WORD_1
	v_mul_f16_sdwa v26, v15, v54 dst_sel:DWORD dst_unused:UNUSED_PAD src0_sel:DWORD src1_sel:WORD_1
	v_fma_f16 v44, v16, v49, -v22
	v_fma_f16 v16, v33, v50, -v24
	;; [unrolled: 1-line block ×3, first 2 shown]
	v_add_f16_e32 v47, v13, v39
	v_add_f16_e32 v57, v38, v55
	;; [unrolled: 1-line block ×3, first 2 shown]
	v_fmac_f16_e32 v30, v20, v48
	v_fma_f16 v34, v34, v48, -v21
	v_fmac_f16_e32 v35, v14, v49
	v_fmac_f16_e32 v23, v18, v50
	;; [unrolled: 1-line block ×3, first 2 shown]
	v_fma_f16 v32, v32, v51, -v25
	v_fmac_f16_e32 v26, v12, v54
	v_add_f16_e32 v25, v16, v15
	v_add_f16_e32 v59, v55, v58
	v_sub_f16_e32 v55, v55, v58
	v_add_f16_e32 v12, v47, v41
	v_add_f16_e32 v14, v57, v58
	v_fma_f16 v49, -0.5, v61, v42
	v_add_f16_e32 v19, v35, v36
	v_add_f16_e32 v20, v30, v23
	;; [unrolled: 1-line block ×3, first 2 shown]
	v_sub_f16_e32 v23, v23, v26
	v_fma_f16 v46, -0.5, v25, v34
	v_add_f16_e32 v53, v39, v41
	v_sub_f16_e32 v60, v43, v40
	v_fmac_f16_e32 v38, -0.5, v59
	v_add_f16_e32 v18, v17, v35
	v_sub_f16_e32 v21, v44, v32
	v_sub_f16_e32 v24, v16, v15
	v_fmamk_f16 v51, v55, 0x3aee, v49
	v_fmac_f16_e32 v49, 0xbaee, v55
	v_add_f16_e32 v47, v12, v14
	v_fmac_f16_e32 v17, -0.5, v19
	v_fmac_f16_e32 v30, -0.5, v22
	v_fmamk_f16 v48, v23, 0x3aee, v46
	v_fmac_f16_e32 v46, 0xbaee, v23
	v_sub_f16_e32 v56, v45, v37
	v_fmac_f16_e32 v13, -0.5, v53
	v_fmamk_f16 v50, v60, 0xbaee, v38
	v_fmac_f16_e32 v38, 0x3aee, v60
	v_sub_f16_e32 v53, v12, v14
	v_add_f16_e32 v19, v20, v26
	v_mul_f16_e32 v14, 0xbaee, v51
	v_mul_f16_e32 v25, 0xbaee, v49
	ds_write_b16 v31, v47
	v_fmamk_f16 v20, v21, 0xbaee, v17
	v_fmac_f16_e32 v17, 0x3aee, v21
	v_fmamk_f16 v47, v24, 0xbaee, v30
	v_fmac_f16_e32 v30, 0x3aee, v24
	v_mul_f16_e32 v21, 0xbaee, v48
	v_mul_f16_e32 v22, 0xbaee, v46
	v_fmamk_f16 v33, v56, 0xbaee, v13
	v_fmac_f16_e32 v13, 0x3aee, v56
	v_add_f16_e32 v18, v18, v36
	v_fmac_f16_e32 v14, 0.5, v50
	v_fmac_f16_e32 v25, -0.5, v38
	v_fmac_f16_e32 v21, 0.5, v47
	v_fmac_f16_e32 v22, -0.5, v30
	v_sub_f16_e32 v12, v18, v19
	v_add_f16_e32 v23, v33, v14
	v_add_f16_e32 v24, v13, v25
	v_sub_f16_e32 v26, v33, v14
	v_sub_f16_e32 v25, v13, v25
	;; [unrolled: 1-line block ×4, first 2 shown]
	v_mul_lo_u16 v33, 0x21c, v52
	ds_write_b16 v31, v23 offset:180
	ds_write_b16 v31, v24 offset:360
	;; [unrolled: 1-line block ×5, first 2 shown]
	s_and_saveexec_b32 s2, s1
	s_cbranch_execz .LBB0_35
; %bb.34:
	v_mov_b32_e32 v23, 1
	v_add_f16_e32 v18, v18, v19
	v_add_f16_e32 v20, v20, v21
	;; [unrolled: 1-line block ×3, first 2 shown]
	v_lshlrev_b32_sdwa v24, v23, v29 dst_sel:DWORD dst_unused:UNUSED_PAD src0_sel:DWORD src1_sel:WORD_0
	v_lshlrev_b32_sdwa v23, v23, v33 dst_sel:DWORD dst_unused:UNUSED_PAD src0_sel:DWORD src1_sel:WORD_0
	v_add3_u32 v19, 0, v24, v23
	ds_write_b16 v19, v18
	ds_write_b16 v19, v20 offset:180
	ds_write_b16 v19, v17 offset:360
	;; [unrolled: 1-line block ×5, first 2 shown]
.LBB0_35:
	s_or_b32 exec_lo, exec_lo, s2
	s_waitcnt lgkmcnt(0)
	s_barrier
	buffer_gl0_inv
	ds_read_u16 v18, v0
	ds_read_u16 v20, v0 offset:1080
	ds_read_u16 v23, v0 offset:1404
	;; [unrolled: 1-line block ×3, first 2 shown]
	ds_read_u16 v22, v11
	ds_read_u16 v19, v5
	ds_read_u16 v25, v0 offset:2808
	ds_read_u16 v21, v0 offset:2160
	;; [unrolled: 1-line block ×3, first 2 shown]
	s_and_saveexec_b32 s2, s0
	s_cbranch_execz .LBB0_37
; %bb.36:
	ds_read_u16 v13, v0 offset:2052
	ds_read_u16 v12, v6
	ds_read_u16 v14, v0 offset:3132
.LBB0_37:
	s_or_b32 exec_lo, exec_lo, s2
	v_add_f16_e32 v17, v45, v37
	v_add_f16_e32 v45, v28, v45
	v_sub_f16_e32 v39, v39, v41
	v_add_f16_e32 v41, v42, v43
	v_add_f16_e32 v16, v34, v16
	v_fmac_f16_e32 v28, -0.5, v17
	v_mul_f16_e32 v17, -0.5, v49
	v_add_f16_e32 v37, v45, v37
	v_add_f16_e32 v40, v41, v40
	v_mul_f16_e32 v34, 0.5, v48
	v_fmamk_f16 v41, v39, 0x3aee, v28
	v_fmac_f16_e32 v17, 0x3aee, v38
	v_add_f16_e32 v38, v44, v32
	v_fmac_f16_e32 v28, 0xbaee, v39
	v_add_f16_e32 v39, v37, v40
	v_add_f16_e32 v44, v27, v44
	v_sub_f16_e32 v40, v37, v40
	v_fmac_f16_e32 v27, -0.5, v38
	v_sub_f16_e32 v37, v35, v36
	v_mul_f16_e32 v35, -0.5, v46
	v_mul_f16_e32 v42, 0.5, v51
	v_add_f16_e32 v32, v44, v32
	v_fmac_f16_e32 v34, 0x3aee, v47
	v_fmamk_f16 v36, v37, 0x3aee, v27
	v_fmac_f16_e32 v27, 0xbaee, v37
	v_add_f16_e32 v37, v16, v15
	v_fmac_f16_e32 v35, 0x3aee, v30
	v_fmac_f16_e32 v42, 0x3aee, v50
	v_add_f16_e32 v45, v28, v17
	v_sub_f16_e32 v28, v28, v17
	v_sub_f16_e32 v15, v32, v37
	;; [unrolled: 1-line block ×4, first 2 shown]
	v_add_f16_e32 v43, v41, v42
	v_sub_f16_e32 v30, v41, v42
	s_waitcnt lgkmcnt(0)
	s_barrier
	buffer_gl0_inv
	ds_write_b16 v31, v39
	ds_write_b16 v31, v43 offset:180
	ds_write_b16 v31, v45 offset:360
	;; [unrolled: 1-line block ×5, first 2 shown]
	s_and_saveexec_b32 s2, s1
	s_cbranch_execz .LBB0_39
; %bb.38:
	v_mov_b32_e32 v28, 1
	v_add_f16_e32 v30, v32, v37
	v_add_f16_e32 v27, v27, v35
	v_lshlrev_b32_sdwa v29, v28, v29 dst_sel:DWORD dst_unused:UNUSED_PAD src0_sel:DWORD src1_sel:WORD_0
	v_lshlrev_b32_sdwa v28, v28, v33 dst_sel:DWORD dst_unused:UNUSED_PAD src0_sel:DWORD src1_sel:WORD_0
	v_add3_u32 v28, 0, v29, v28
	v_add_f16_e32 v29, v36, v34
	ds_write_b16 v28, v30
	ds_write_b16 v28, v29 offset:180
	ds_write_b16 v28, v27 offset:360
	;; [unrolled: 1-line block ×5, first 2 shown]
.LBB0_39:
	s_or_b32 exec_lo, exec_lo, s2
	s_waitcnt lgkmcnt(0)
	s_barrier
	buffer_gl0_inv
	ds_read_u16 v27, v0
	ds_read_u16 v28, v0 offset:1080
	ds_read_u16 v31, v0 offset:1404
	ds_read_u16 v32, v0 offset:2484
	ds_read_u16 v30, v11
	ds_read_u16 v11, v5
	ds_read_u16 v33, v0 offset:2808
	ds_read_u16 v29, v0 offset:2160
	;; [unrolled: 1-line block ×3, first 2 shown]
	s_and_saveexec_b32 s1, s0
	s_cbranch_execz .LBB0_41
; %bb.40:
	ds_read_u16 v16, v0 offset:2052
	ds_read_u16 v15, v6
	ds_read_u16 v17, v0 offset:3132
.LBB0_41:
	s_or_b32 exec_lo, exec_lo, s1
	s_and_saveexec_b32 s1, vcc_lo
	s_cbranch_execz .LBB0_44
; %bb.42:
	v_lshlrev_b32_e32 v5, 1, v10
	v_mov_b32_e32 v6, 0
	v_add_nc_u32_e32 v40, 0xa2, v7
	v_mul_lo_u32 v39, s4, v4
	v_add_nc_u32_e32 v41, 0x144, v7
	v_lshlrev_b64 v[35:36], 2, v[5:6]
	v_lshlrev_b32_e32 v5, 1, v9
	v_mul_hi_u32 v42, 0xf2b9d649, v40
	v_mul_hi_u32 v43, 0xf2b9d649, v41
	v_add_co_u32 v0, vcc_lo, s8, v35
	v_add_co_ci_u32_e32 v10, vcc_lo, s9, v36, vcc_lo
	v_lshlrev_b64 v[35:36], 2, v[5:6]
	v_add_co_u32 v9, vcc_lo, 0x800, v0
	v_lshlrev_b32_e32 v5, 1, v7
	v_add_co_ci_u32_e32 v10, vcc_lo, 0, v10, vcc_lo
	v_add_co_u32 v0, vcc_lo, s8, v35
	v_add_co_ci_u32_e32 v36, vcc_lo, s9, v36, vcc_lo
	v_lshlrev_b64 v[37:38], 2, v[5:6]
	v_add_co_u32 v35, vcc_lo, 0x800, v0
	v_add_co_ci_u32_e32 v36, vcc_lo, 0, v36, vcc_lo
	global_load_dwordx2 v[9:10], v[9:10], off offset:72
	v_add_co_u32 v0, vcc_lo, s8, v37
	global_load_dwordx2 v[35:36], v[35:36], off offset:72
	v_add_co_ci_u32_e32 v5, vcc_lo, s9, v38, vcc_lo
	v_add_co_u32 v37, vcc_lo, 0x800, v0
	v_mul_hi_u32 v0, 0xf2b9d649, v7
	v_add_co_ci_u32_e32 v38, vcc_lo, 0, v5, vcc_lo
	v_mul_lo_u32 v5, s5, v3
	v_mad_u64_u32 v[3:4], null, s4, v3, 0
	global_load_dwordx2 v[37:38], v[37:38], off offset:72
	v_lshrrev_b32_e32 v42, 9, v42
	v_lshrrev_b32_e32 v44, 9, v0
	;; [unrolled: 1-line block ×3, first 2 shown]
	v_lshlrev_b64 v[0:1], 2, v[1:2]
	v_add_nc_u32_e32 v2, 0x1e6, v7
	v_add3_u32 v4, v4, v39, v5
	v_mul_u32_u24_e32 v5, 0x21c, v44
	v_mul_u32_u24_e32 v39, 0x21c, v42
	;; [unrolled: 1-line block ×3, first 2 shown]
	v_cmp_gt_u32_e32 vcc_lo, 0x21c, v2
	v_lshlrev_b64 v[3:4], 2, v[3:4]
	v_sub_nc_u32_e32 v5, v7, v5
	v_sub_nc_u32_e32 v47, v40, v39
	;; [unrolled: 1-line block ×3, first 2 shown]
	v_add_nc_u32_e32 v55, 0x21c, v5
	v_add_co_u32 v45, s1, s14, v3
	v_add_nc_u32_e32 v57, 0x438, v5
	v_add_co_ci_u32_e64 v46, s1, s15, v4, s1
	v_mad_u64_u32 v[3:4], null, s20, v5, 0
	v_mad_u64_u32 v[39:40], null, s20, v55, 0
	v_mad_u32_u24 v58, 0x654, v42, v47
	v_mad_u64_u32 v[41:42], null, s20, v57, 0
	v_mad_u32_u24 v59, 0x654, v43, v44
	v_mad_u64_u32 v[4:5], null, s21, v5, v[4:5]
	v_mad_u64_u32 v[43:44], null, s20, v58, 0
	v_add_nc_u32_e32 v60, 0x21c, v58
	v_add_nc_u32_e32 v61, 0x438, v58
	v_add_co_u32 v0, s1, v45, v0
	v_mov_b32_e32 v5, v40
	v_add_co_ci_u32_e64 v1, s1, v46, v1, s1
	v_mad_u64_u32 v[45:46], null, s20, v59, 0
	v_add_nc_u32_e32 v63, 0x438, v59
	v_mad_u64_u32 v[47:48], null, s20, v60, 0
	v_mov_b32_e32 v40, v42
	v_mad_u64_u32 v[49:50], null, s20, v61, 0
	v_mad_u64_u32 v[55:56], null, s21, v55, v[5:6]
	v_mov_b32_e32 v5, v44
	v_mad_u64_u32 v[53:54], null, s20, v63, 0
	v_add_nc_u32_e32 v62, 0x21c, v59
	v_mad_u64_u32 v[56:57], null, s21, v57, v[40:41]
	v_mov_b32_e32 v40, v46
	v_mad_u64_u32 v[57:58], null, s21, v58, v[5:6]
	v_mov_b32_e32 v5, v48
	v_mov_b32_e32 v44, v50
	v_mad_u64_u32 v[51:52], null, s20, v62, 0
	v_mad_u64_u32 v[58:59], null, s21, v59, v[40:41]
	v_mov_b32_e32 v48, v54
	v_mov_b32_e32 v40, v55
	v_mad_u64_u32 v[54:55], null, s21, v60, v[5:6]
	v_mov_b32_e32 v42, v56
	v_mad_u64_u32 v[55:56], null, s21, v61, v[44:45]
	v_mov_b32_e32 v46, v52
	v_mov_b32_e32 v44, v57
	v_lshlrev_b64 v[3:4], 2, v[3:4]
	v_lshlrev_b64 v[39:40], 2, v[39:40]
	;; [unrolled: 1-line block ×3, first 2 shown]
	v_mad_u64_u32 v[59:60], null, s21, v62, v[46:47]
	v_mov_b32_e32 v50, v55
	v_add_co_u32 v3, s1, v0, v3
	v_mov_b32_e32 v46, v58
	v_add_co_ci_u32_e64 v4, s1, v1, v4, s1
	v_mov_b32_e32 v52, v59
	v_lshlrev_b64 v[43:44], 2, v[43:44]
	v_add_co_u32 v39, s1, v0, v39
	v_mad_u64_u32 v[60:61], null, s21, v63, v[48:49]
	v_mov_b32_e32 v48, v54
	v_add_co_ci_u32_e64 v40, s1, v1, v40, s1
	v_lshlrev_b64 v[45:46], 2, v[45:46]
	v_add_co_u32 v41, s1, v0, v41
	v_add_co_ci_u32_e64 v42, s1, v1, v42, s1
	v_lshlrev_b64 v[47:48], 2, v[47:48]
	v_add_co_u32 v43, s1, v0, v43
	;; [unrolled: 3-line block ×3, first 2 shown]
	v_mov_b32_e32 v54, v60
	v_add_co_ci_u32_e64 v46, s1, v1, v46, s1
	v_lshlrev_b64 v[51:52], 2, v[51:52]
	v_add_co_u32 v47, s1, v0, v47
	v_add_co_ci_u32_e64 v48, s1, v1, v48, s1
	v_lshlrev_b64 v[53:54], 2, v[53:54]
	v_add_co_u32 v49, s1, v0, v49
	v_add_co_ci_u32_e64 v50, s1, v1, v50, s1
	v_add_co_u32 v51, s1, v0, v51
	v_add_co_ci_u32_e64 v52, s1, v1, v52, s1
	;; [unrolled: 2-line block ×3, first 2 shown]
	s_waitcnt vmcnt(2)
	v_mul_f16_sdwa v5, v26, v9 dst_sel:DWORD dst_unused:UNUSED_PAD src0_sel:DWORD src1_sel:WORD_1
	v_mul_f16_sdwa v55, v25, v10 dst_sel:DWORD dst_unused:UNUSED_PAD src0_sel:DWORD src1_sel:WORD_1
	s_waitcnt lgkmcnt(0)
	v_mul_f16_sdwa v56, v34, v9 dst_sel:DWORD dst_unused:UNUSED_PAD src0_sel:DWORD src1_sel:WORD_1
	v_mul_f16_sdwa v57, v33, v10 dst_sel:DWORD dst_unused:UNUSED_PAD src0_sel:DWORD src1_sel:WORD_1
	v_fma_f16 v5, v34, v9, -v5
	v_fma_f16 v33, v33, v10, -v55
	v_fmac_f16_e32 v56, v26, v9
	v_fmac_f16_e32 v57, v25, v10
	s_waitcnt vmcnt(1)
	v_mul_f16_sdwa v9, v23, v35 dst_sel:DWORD dst_unused:UNUSED_PAD src0_sel:DWORD src1_sel:WORD_1
	v_mul_f16_sdwa v10, v24, v36 dst_sel:DWORD dst_unused:UNUSED_PAD src0_sel:DWORD src1_sel:WORD_1
	;; [unrolled: 1-line block ×4, first 2 shown]
	v_add_f16_e32 v34, v5, v33
	v_sub_f16_e32 v55, v56, v57
	v_add_f16_e32 v59, v56, v57
	v_add_f16_e32 v56, v22, v56
	v_fma_f16 v9, v31, v35, -v9
	v_fma_f16 v10, v32, v36, -v10
	v_fmac_f16_e32 v25, v23, v35
	v_fmac_f16_e32 v26, v24, v36
	s_waitcnt vmcnt(0)
	v_mul_f16_sdwa v23, v20, v37 dst_sel:DWORD dst_unused:UNUSED_PAD src0_sel:DWORD src1_sel:WORD_1
	v_mul_f16_sdwa v24, v21, v38 dst_sel:DWORD dst_unused:UNUSED_PAD src0_sel:DWORD src1_sel:WORD_1
	;; [unrolled: 1-line block ×4, first 2 shown]
	v_add_f16_e32 v58, v30, v5
	v_sub_f16_e32 v5, v5, v33
	v_fma_f16 v30, -0.5, v34, v30
	v_fma_f16 v22, -0.5, v59, v22
	v_add_f16_e32 v34, v56, v57
	v_add_f16_e32 v35, v9, v10
	v_sub_f16_e32 v36, v25, v26
	v_add_f16_e32 v57, v25, v26
	v_add_f16_e32 v25, v19, v25
	v_fma_f16 v23, v28, v37, -v23
	v_fma_f16 v24, v29, v38, -v24
	v_fmac_f16_e32 v31, v20, v37
	v_fmac_f16_e32 v32, v21, v38
	v_add_f16_e32 v56, v11, v9
	v_sub_f16_e32 v9, v9, v10
	v_fmamk_f16 v21, v5, 0x3aee, v22
	v_fmac_f16_e32 v22, 0xbaee, v5
	v_fma_f16 v5, -0.5, v35, v11
	v_fma_f16 v11, -0.5, v57, v19
	v_add_f16_e32 v19, v25, v26
	v_add_f16_e32 v25, v23, v24
	;; [unrolled: 1-line block ×3, first 2 shown]
	v_sub_f16_e32 v26, v31, v32
	v_add_f16_e32 v28, v27, v23
	v_add_f16_e32 v31, v18, v31
	v_sub_f16_e32 v23, v23, v24
	v_fmamk_f16 v35, v9, 0x3aee, v11
	v_fma_f16 v25, -0.5, v25, v27
	v_fmac_f16_e32 v11, 0xbaee, v9
	v_fma_f16 v9, -0.5, v29, v18
	v_add_f16_e32 v33, v58, v33
	v_add_f16_e32 v18, v28, v24
	v_add_f16_e32 v24, v31, v32
	v_fmamk_f16 v27, v26, 0xbaee, v25
	v_fmac_f16_e32 v25, 0x3aee, v26
	v_fmamk_f16 v26, v23, 0x3aee, v9
	v_fmac_f16_e32 v9, 0xbaee, v23
	v_fmamk_f16 v20, v55, 0xbaee, v30
	v_add_f16_e32 v10, v56, v10
	v_pack_b32_f16 v33, v34, v33
	v_fmamk_f16 v34, v36, 0xbaee, v5
	v_fmac_f16_e32 v5, 0x3aee, v36
	v_fmac_f16_e32 v30, 0x3aee, v55
	v_pack_b32_f16 v18, v24, v18
	v_pack_b32_f16 v9, v9, v25
	;; [unrolled: 1-line block ×8, first 2 shown]
	global_store_dword v[3:4], v18, off
	global_store_dword v[39:40], v9, off
	;; [unrolled: 1-line block ×9, first 2 shown]
	s_and_b32 exec_lo, exec_lo, vcc_lo
	s_cbranch_execz .LBB0_44
; %bb.43:
	v_subrev_nc_u32_e32 v3, 54, v7
	v_add_nc_u32_e32 v11, 0x402, v7
	v_add_nc_u32_e32 v21, 0x61e, v7
	v_cndmask_b32_e64 v3, v3, v8, s0
	v_mad_u64_u32 v[7:8], null, s20, v11, 0
	v_mad_u64_u32 v[9:10], null, s20, v21, 0
	v_lshlrev_b32_e32 v5, 1, v3
	v_lshlrev_b64 v[3:4], 2, v[5:6]
	v_mad_u64_u32 v[5:6], null, s20, v2, 0
	v_add_co_u32 v3, vcc_lo, s8, v3
	v_add_co_ci_u32_e32 v4, vcc_lo, s9, v4, vcc_lo
	v_mad_u64_u32 v[18:19], null, s21, v2, v[6:7]
	v_add_co_u32 v3, vcc_lo, 0x800, v3
	v_add_co_ci_u32_e32 v4, vcc_lo, 0, v4, vcc_lo
	v_mad_u64_u32 v[19:20], null, s21, v11, v[8:9]
	v_mov_b32_e32 v6, v18
	global_load_dwordx2 v[3:4], v[3:4], off offset:72
	v_mad_u64_u32 v[10:11], null, s21, v21, v[10:11]
	v_lshlrev_b64 v[5:6], 2, v[5:6]
	v_mov_b32_e32 v8, v19
	v_lshlrev_b64 v[9:10], 2, v[9:10]
	v_lshlrev_b64 v[7:8], 2, v[7:8]
	v_add_co_u32 v5, vcc_lo, v0, v5
	v_add_co_ci_u32_e32 v6, vcc_lo, v1, v6, vcc_lo
	s_waitcnt vmcnt(0)
	v_mul_f16_sdwa v11, v16, v3 dst_sel:DWORD dst_unused:UNUSED_PAD src0_sel:DWORD src1_sel:WORD_1
	v_mul_f16_sdwa v2, v13, v3 dst_sel:DWORD dst_unused:UNUSED_PAD src0_sel:DWORD src1_sel:WORD_1
	;; [unrolled: 1-line block ×4, first 2 shown]
	v_fmac_f16_e32 v11, v13, v3
	v_fma_f16 v13, v16, v3, -v2
	v_fmac_f16_e32 v18, v14, v4
	v_fma_f16 v4, v17, v4, -v19
	v_add_co_u32 v2, vcc_lo, v0, v7
	v_add_co_ci_u32_e32 v3, vcc_lo, v1, v8, vcc_lo
	v_add_f16_e32 v7, v11, v18
	v_add_f16_e32 v14, v13, v4
	;; [unrolled: 1-line block ×3, first 2 shown]
	v_sub_f16_e32 v16, v13, v4
	v_add_f16_e32 v13, v15, v13
	v_fmac_f16_e32 v12, -0.5, v7
	v_sub_f16_e32 v7, v11, v18
	v_fmac_f16_e32 v15, -0.5, v14
	v_add_f16_e32 v8, v8, v18
	v_add_f16_e32 v4, v13, v4
	v_fmamk_f16 v11, v16, 0xbaee, v12
	v_fmac_f16_e32 v12, 0x3aee, v16
	v_fmamk_f16 v13, v7, 0x3aee, v15
	v_fmac_f16_e32 v15, 0xbaee, v7
	v_add_co_u32 v0, vcc_lo, v0, v9
	v_pack_b32_f16 v4, v8, v4
	v_pack_b32_f16 v7, v11, v13
	v_add_co_ci_u32_e32 v1, vcc_lo, v1, v10, vcc_lo
	v_pack_b32_f16 v8, v12, v15
	global_store_dword v[5:6], v4, off
	global_store_dword v[2:3], v7, off
	;; [unrolled: 1-line block ×3, first 2 shown]
.LBB0_44:
	s_endpgm
	.section	.rodata,"a",@progbits
	.p2align	6, 0x0
	.amdhsa_kernel fft_rtc_back_len1620_factors_10_3_3_6_3_wgs_162_tpt_162_halfLds_half_op_CI_CI_sbrr_dirReg
		.amdhsa_group_segment_fixed_size 0
		.amdhsa_private_segment_fixed_size 0
		.amdhsa_kernarg_size 104
		.amdhsa_user_sgpr_count 6
		.amdhsa_user_sgpr_private_segment_buffer 1
		.amdhsa_user_sgpr_dispatch_ptr 0
		.amdhsa_user_sgpr_queue_ptr 0
		.amdhsa_user_sgpr_kernarg_segment_ptr 1
		.amdhsa_user_sgpr_dispatch_id 0
		.amdhsa_user_sgpr_flat_scratch_init 0
		.amdhsa_user_sgpr_private_segment_size 0
		.amdhsa_wavefront_size32 1
		.amdhsa_uses_dynamic_stack 0
		.amdhsa_system_sgpr_private_segment_wavefront_offset 0
		.amdhsa_system_sgpr_workgroup_id_x 1
		.amdhsa_system_sgpr_workgroup_id_y 0
		.amdhsa_system_sgpr_workgroup_id_z 0
		.amdhsa_system_sgpr_workgroup_info 0
		.amdhsa_system_vgpr_workitem_id 0
		.amdhsa_next_free_vgpr 67
		.amdhsa_next_free_sgpr 31
		.amdhsa_reserve_vcc 1
		.amdhsa_reserve_flat_scratch 0
		.amdhsa_float_round_mode_32 0
		.amdhsa_float_round_mode_16_64 0
		.amdhsa_float_denorm_mode_32 3
		.amdhsa_float_denorm_mode_16_64 3
		.amdhsa_dx10_clamp 1
		.amdhsa_ieee_mode 1
		.amdhsa_fp16_overflow 0
		.amdhsa_workgroup_processor_mode 1
		.amdhsa_memory_ordered 1
		.amdhsa_forward_progress 0
		.amdhsa_shared_vgpr_count 0
		.amdhsa_exception_fp_ieee_invalid_op 0
		.amdhsa_exception_fp_denorm_src 0
		.amdhsa_exception_fp_ieee_div_zero 0
		.amdhsa_exception_fp_ieee_overflow 0
		.amdhsa_exception_fp_ieee_underflow 0
		.amdhsa_exception_fp_ieee_inexact 0
		.amdhsa_exception_int_div_zero 0
	.end_amdhsa_kernel
	.text
.Lfunc_end0:
	.size	fft_rtc_back_len1620_factors_10_3_3_6_3_wgs_162_tpt_162_halfLds_half_op_CI_CI_sbrr_dirReg, .Lfunc_end0-fft_rtc_back_len1620_factors_10_3_3_6_3_wgs_162_tpt_162_halfLds_half_op_CI_CI_sbrr_dirReg
                                        ; -- End function
	.section	.AMDGPU.csdata,"",@progbits
; Kernel info:
; codeLenInByte = 9432
; NumSgprs: 33
; NumVgprs: 67
; ScratchSize: 0
; MemoryBound: 0
; FloatMode: 240
; IeeeMode: 1
; LDSByteSize: 0 bytes/workgroup (compile time only)
; SGPRBlocks: 4
; VGPRBlocks: 8
; NumSGPRsForWavesPerEU: 33
; NumVGPRsForWavesPerEU: 67
; Occupancy: 12
; WaveLimiterHint : 1
; COMPUTE_PGM_RSRC2:SCRATCH_EN: 0
; COMPUTE_PGM_RSRC2:USER_SGPR: 6
; COMPUTE_PGM_RSRC2:TRAP_HANDLER: 0
; COMPUTE_PGM_RSRC2:TGID_X_EN: 1
; COMPUTE_PGM_RSRC2:TGID_Y_EN: 0
; COMPUTE_PGM_RSRC2:TGID_Z_EN: 0
; COMPUTE_PGM_RSRC2:TIDIG_COMP_CNT: 0
	.text
	.p2alignl 6, 3214868480
	.fill 48, 4, 3214868480
	.type	__hip_cuid_d819daea7dc8f84e,@object ; @__hip_cuid_d819daea7dc8f84e
	.section	.bss,"aw",@nobits
	.globl	__hip_cuid_d819daea7dc8f84e
__hip_cuid_d819daea7dc8f84e:
	.byte	0                               ; 0x0
	.size	__hip_cuid_d819daea7dc8f84e, 1

	.ident	"AMD clang version 19.0.0git (https://github.com/RadeonOpenCompute/llvm-project roc-6.4.0 25133 c7fe45cf4b819c5991fe208aaa96edf142730f1d)"
	.section	".note.GNU-stack","",@progbits
	.addrsig
	.addrsig_sym __hip_cuid_d819daea7dc8f84e
	.amdgpu_metadata
---
amdhsa.kernels:
  - .args:
      - .actual_access:  read_only
        .address_space:  global
        .offset:         0
        .size:           8
        .value_kind:     global_buffer
      - .offset:         8
        .size:           8
        .value_kind:     by_value
      - .actual_access:  read_only
        .address_space:  global
        .offset:         16
        .size:           8
        .value_kind:     global_buffer
      - .actual_access:  read_only
        .address_space:  global
        .offset:         24
        .size:           8
        .value_kind:     global_buffer
      - .actual_access:  read_only
        .address_space:  global
        .offset:         32
        .size:           8
        .value_kind:     global_buffer
      - .offset:         40
        .size:           8
        .value_kind:     by_value
      - .actual_access:  read_only
        .address_space:  global
        .offset:         48
        .size:           8
        .value_kind:     global_buffer
      - .actual_access:  read_only
        .address_space:  global
        .offset:         56
        .size:           8
        .value_kind:     global_buffer
      - .offset:         64
        .size:           4
        .value_kind:     by_value
      - .actual_access:  read_only
        .address_space:  global
        .offset:         72
        .size:           8
        .value_kind:     global_buffer
      - .actual_access:  read_only
        .address_space:  global
        .offset:         80
        .size:           8
        .value_kind:     global_buffer
      - .actual_access:  read_only
        .address_space:  global
        .offset:         88
        .size:           8
        .value_kind:     global_buffer
      - .actual_access:  write_only
        .address_space:  global
        .offset:         96
        .size:           8
        .value_kind:     global_buffer
    .group_segment_fixed_size: 0
    .kernarg_segment_align: 8
    .kernarg_segment_size: 104
    .language:       OpenCL C
    .language_version:
      - 2
      - 0
    .max_flat_workgroup_size: 162
    .name:           fft_rtc_back_len1620_factors_10_3_3_6_3_wgs_162_tpt_162_halfLds_half_op_CI_CI_sbrr_dirReg
    .private_segment_fixed_size: 0
    .sgpr_count:     33
    .sgpr_spill_count: 0
    .symbol:         fft_rtc_back_len1620_factors_10_3_3_6_3_wgs_162_tpt_162_halfLds_half_op_CI_CI_sbrr_dirReg.kd
    .uniform_work_group_size: 1
    .uses_dynamic_stack: false
    .vgpr_count:     67
    .vgpr_spill_count: 0
    .wavefront_size: 32
    .workgroup_processor_mode: 1
amdhsa.target:   amdgcn-amd-amdhsa--gfx1030
amdhsa.version:
  - 1
  - 2
...

	.end_amdgpu_metadata
